;; amdgpu-corpus repo=ROCm/rocFFT kind=compiled arch=gfx950 opt=O3
	.text
	.amdgcn_target "amdgcn-amd-amdhsa--gfx950"
	.amdhsa_code_object_version 6
	.protected	fft_rtc_back_len720_factors_10_3_8_3_wgs_240_tpt_120_halfLds_dp_ip_CI_sbrr_dirReg ; -- Begin function fft_rtc_back_len720_factors_10_3_8_3_wgs_240_tpt_120_halfLds_dp_ip_CI_sbrr_dirReg
	.globl	fft_rtc_back_len720_factors_10_3_8_3_wgs_240_tpt_120_halfLds_dp_ip_CI_sbrr_dirReg
	.p2align	8
	.type	fft_rtc_back_len720_factors_10_3_8_3_wgs_240_tpt_120_halfLds_dp_ip_CI_sbrr_dirReg,@function
fft_rtc_back_len720_factors_10_3_8_3_wgs_240_tpt_120_halfLds_dp_ip_CI_sbrr_dirReg: ; @fft_rtc_back_len720_factors_10_3_8_3_wgs_240_tpt_120_halfLds_dp_ip_CI_sbrr_dirReg
; %bb.0:
	s_load_dwordx2 s[12:13], s[0:1], 0x18
	s_load_dwordx4 s[4:7], s[0:1], 0x0
	s_load_dwordx2 s[10:11], s[0:1], 0x50
	v_mul_u32_u24_e32 v1, 0x223, v0
	v_lshrrev_b32_e32 v1, 16, v1
	s_waitcnt lgkmcnt(0)
	s_load_dwordx2 s[8:9], s[12:13], 0x0
	v_lshl_add_u32 v6, s2, 1, v1
	v_mov_b32_e32 v4, 0
	v_cmp_lt_u64_e64 s[2:3], s[6:7], 2
	v_mov_b32_e32 v7, v4
	s_and_b64 vcc, exec, s[2:3]
	v_mov_b64_e32 v[2:3], 0
	s_cbranch_vccnz .LBB0_8
; %bb.1:
	s_load_dwordx2 s[2:3], s[0:1], 0x10
	s_add_u32 s14, s12, 8
	s_addc_u32 s15, s13, 0
	s_mov_b64 s[16:17], 1
	v_mov_b64_e32 v[2:3], 0
	s_waitcnt lgkmcnt(0)
	s_add_u32 s18, s2, 8
	s_addc_u32 s19, s3, 0
.LBB0_2:                                ; =>This Inner Loop Header: Depth=1
	s_load_dwordx2 s[20:21], s[18:19], 0x0
                                        ; implicit-def: $vgpr8_vgpr9
	s_waitcnt lgkmcnt(0)
	v_or_b32_e32 v5, s21, v7
	v_cmp_ne_u64_e32 vcc, 0, v[4:5]
	s_and_saveexec_b64 s[2:3], vcc
	s_xor_b64 s[22:23], exec, s[2:3]
	s_cbranch_execz .LBB0_4
; %bb.3:                                ;   in Loop: Header=BB0_2 Depth=1
	v_cvt_f32_u32_e32 v5, s20
	v_cvt_f32_u32_e32 v8, s21
	s_sub_u32 s2, 0, s20
	s_subb_u32 s3, 0, s21
	v_fmac_f32_e32 v5, 0x4f800000, v8
	v_rcp_f32_e32 v5, v5
	s_nop 0
	v_mul_f32_e32 v5, 0x5f7ffffc, v5
	v_mul_f32_e32 v8, 0x2f800000, v5
	v_trunc_f32_e32 v8, v8
	v_fmac_f32_e32 v5, 0xcf800000, v8
	v_cvt_u32_f32_e32 v12, v8
	v_cvt_u32_f32_e32 v5, v5
	v_mul_lo_u32 v8, s2, v12
	v_mul_hi_u32 v10, s2, v5
	v_mul_lo_u32 v9, s3, v5
	v_add_u32_e32 v10, v10, v8
	v_mul_lo_u32 v13, s2, v5
	v_add_u32_e32 v14, v10, v9
	v_mul_hi_u32 v8, v5, v13
	v_mul_hi_u32 v11, v5, v14
	v_mul_lo_u32 v10, v5, v14
	v_mov_b32_e32 v9, v4
	v_lshl_add_u64 v[8:9], v[8:9], 0, v[10:11]
	v_mul_hi_u32 v11, v12, v13
	v_mul_lo_u32 v13, v12, v13
	v_add_co_u32_e32 v8, vcc, v8, v13
	v_mul_hi_u32 v10, v12, v14
	s_nop 0
	v_addc_co_u32_e32 v8, vcc, v9, v11, vcc
	v_mov_b32_e32 v9, v4
	s_nop 0
	v_addc_co_u32_e32 v11, vcc, 0, v10, vcc
	v_mul_lo_u32 v10, v12, v14
	v_lshl_add_u64 v[8:9], v[8:9], 0, v[10:11]
	v_add_co_u32_e32 v5, vcc, v5, v8
	v_mul_lo_u32 v10, s2, v5
	s_nop 0
	v_addc_co_u32_e32 v12, vcc, v12, v9, vcc
	v_mul_lo_u32 v8, s2, v12
	v_mul_hi_u32 v9, s2, v5
	v_add_u32_e32 v8, v9, v8
	v_mul_lo_u32 v9, s3, v5
	v_add_u32_e32 v13, v8, v9
	v_mul_hi_u32 v15, v12, v10
	v_mul_lo_u32 v16, v12, v10
	v_mul_hi_u32 v9, v5, v13
	v_mul_lo_u32 v8, v5, v13
	v_mul_hi_u32 v10, v5, v10
	v_mov_b32_e32 v11, v4
	v_lshl_add_u64 v[8:9], v[10:11], 0, v[8:9]
	v_add_co_u32_e32 v8, vcc, v8, v16
	v_mul_hi_u32 v14, v12, v13
	s_nop 0
	v_addc_co_u32_e32 v8, vcc, v9, v15, vcc
	v_mul_lo_u32 v10, v12, v13
	s_nop 0
	v_addc_co_u32_e32 v11, vcc, 0, v14, vcc
	v_mov_b32_e32 v9, v4
	v_lshl_add_u64 v[8:9], v[8:9], 0, v[10:11]
	v_add_co_u32_e32 v5, vcc, v5, v8
	v_mul_hi_u32 v10, v6, v5
	s_nop 0
	v_addc_co_u32_e32 v12, vcc, v12, v9, vcc
	v_mad_u64_u32 v[8:9], s[2:3], v6, v12, 0
	v_mov_b32_e32 v11, v4
	v_lshl_add_u64 v[8:9], v[10:11], 0, v[8:9]
	v_mad_u64_u32 v[10:11], s[2:3], v7, v12, 0
	v_mad_u64_u32 v[12:13], s[2:3], v7, v5, 0
	v_add_co_u32_e32 v5, vcc, v8, v12
	s_nop 1
	v_addc_co_u32_e32 v8, vcc, v9, v13, vcc
	v_mov_b32_e32 v9, v4
	s_nop 0
	v_addc_co_u32_e32 v11, vcc, 0, v11, vcc
	v_lshl_add_u64 v[8:9], v[8:9], 0, v[10:11]
	v_mul_lo_u32 v5, s21, v8
	v_mul_lo_u32 v12, s20, v9
	v_mad_u64_u32 v[10:11], s[2:3], s20, v8, 0
	v_add3_u32 v5, v11, v12, v5
	v_sub_u32_e32 v11, v7, v5
	v_mov_b32_e32 v12, s21
	v_sub_co_u32_e32 v14, vcc, v6, v10
	s_nop 1
	v_subb_co_u32_e64 v10, s[2:3], v11, v12, vcc
	v_subrev_co_u32_e64 v11, s[2:3], s20, v14
	v_subb_co_u32_e32 v5, vcc, v7, v5, vcc
	s_nop 0
	v_subbrev_co_u32_e64 v10, s[2:3], 0, v10, s[2:3]
	v_cmp_le_u32_e64 s[2:3], s21, v10
	v_cmp_le_u32_e32 vcc, s21, v5
	s_nop 0
	v_cndmask_b32_e64 v12, 0, -1, s[2:3]
	v_cmp_le_u32_e64 s[2:3], s20, v11
	s_nop 1
	v_cndmask_b32_e64 v11, 0, -1, s[2:3]
	v_cmp_eq_u32_e64 s[2:3], s21, v10
	s_nop 1
	v_cndmask_b32_e64 v15, v12, v11, s[2:3]
	v_lshl_add_u64 v[10:11], v[8:9], 0, 2
	v_lshl_add_u64 v[12:13], v[8:9], 0, 1
	v_cmp_ne_u32_e64 s[2:3], 0, v15
	s_nop 1
	v_cndmask_b32_e64 v11, v13, v11, s[2:3]
	v_cndmask_b32_e64 v13, 0, -1, vcc
	v_cmp_le_u32_e32 vcc, s20, v14
	s_nop 1
	v_cndmask_b32_e64 v14, 0, -1, vcc
	v_cmp_eq_u32_e32 vcc, s21, v5
	s_nop 1
	v_cndmask_b32_e32 v5, v13, v14, vcc
	v_cmp_ne_u32_e32 vcc, 0, v5
	v_cndmask_b32_e64 v5, v12, v10, s[2:3]
	s_nop 0
	v_cndmask_b32_e32 v9, v9, v11, vcc
	v_cndmask_b32_e32 v8, v8, v5, vcc
.LBB0_4:                                ;   in Loop: Header=BB0_2 Depth=1
	s_andn2_saveexec_b64 s[2:3], s[22:23]
	s_cbranch_execz .LBB0_6
; %bb.5:                                ;   in Loop: Header=BB0_2 Depth=1
	v_cvt_f32_u32_e32 v5, s20
	s_sub_i32 s22, 0, s20
	v_rcp_iflag_f32_e32 v5, v5
	s_nop 0
	v_mul_f32_e32 v5, 0x4f7ffffe, v5
	v_cvt_u32_f32_e32 v5, v5
	v_mul_lo_u32 v8, s22, v5
	v_mul_hi_u32 v8, v5, v8
	v_add_u32_e32 v5, v5, v8
	v_mul_hi_u32 v5, v6, v5
	v_mul_lo_u32 v8, v5, s20
	v_sub_u32_e32 v8, v6, v8
	v_add_u32_e32 v9, 1, v5
	v_subrev_u32_e32 v10, s20, v8
	v_cmp_le_u32_e32 vcc, s20, v8
	s_nop 1
	v_cndmask_b32_e32 v8, v8, v10, vcc
	v_cndmask_b32_e32 v5, v5, v9, vcc
	v_add_u32_e32 v9, 1, v5
	v_cmp_le_u32_e32 vcc, s20, v8
	s_nop 1
	v_cndmask_b32_e32 v8, v5, v9, vcc
	v_mov_b32_e32 v9, v4
.LBB0_6:                                ;   in Loop: Header=BB0_2 Depth=1
	s_or_b64 exec, exec, s[2:3]
	v_mad_u64_u32 v[10:11], s[2:3], v8, s20, 0
	s_load_dwordx2 s[2:3], s[14:15], 0x0
	v_mul_lo_u32 v5, v9, s20
	v_mul_lo_u32 v12, v8, s21
	v_add3_u32 v5, v11, v12, v5
	v_sub_co_u32_e32 v6, vcc, v6, v10
	s_add_u32 s16, s16, 1
	s_nop 0
	v_subb_co_u32_e32 v5, vcc, v7, v5, vcc
	s_addc_u32 s17, s17, 0
	s_waitcnt lgkmcnt(0)
	v_mul_lo_u32 v5, s2, v5
	v_mul_lo_u32 v7, s3, v6
	v_mad_u64_u32 v[2:3], s[2:3], s2, v6, v[2:3]
	s_add_u32 s14, s14, 8
	v_add3_u32 v3, v7, v3, v5
	s_addc_u32 s15, s15, 0
	v_mov_b64_e32 v[6:7], s[6:7]
	s_add_u32 s18, s18, 8
	v_cmp_ge_u64_e32 vcc, s[16:17], v[6:7]
	s_addc_u32 s19, s19, 0
	s_cbranch_vccnz .LBB0_9
; %bb.7:                                ;   in Loop: Header=BB0_2 Depth=1
	v_mov_b64_e32 v[6:7], v[8:9]
	s_branch .LBB0_2
.LBB0_8:
	v_mov_b64_e32 v[8:9], v[6:7]
.LBB0_9:
	s_lshl_b64 s[2:3], s[6:7], 3
	s_add_u32 s2, s12, s2
	s_addc_u32 s3, s13, s3
	s_load_dwordx2 s[6:7], s[2:3], 0x0
	s_load_dwordx2 s[12:13], s[0:1], 0x20
                                        ; implicit-def: $vgpr20_vgpr21
                                        ; implicit-def: $vgpr28_vgpr29
                                        ; implicit-def: $vgpr40_vgpr41
                                        ; implicit-def: $vgpr44_vgpr45
                                        ; implicit-def: $vgpr48_vgpr49
                                        ; implicit-def: $vgpr36_vgpr37
                                        ; implicit-def: $vgpr32_vgpr33
                                        ; implicit-def: $vgpr24_vgpr25
                                        ; implicit-def: $vgpr16_vgpr17
	s_waitcnt lgkmcnt(0)
	v_mad_u64_u32 v[2:3], s[0:1], s6, v8, v[2:3]
	v_mul_lo_u32 v4, s6, v9
	v_mul_lo_u32 v5, s7, v8
	s_mov_b32 s0, 0x2222223
	v_add3_u32 v3, v5, v3, v4
	v_mul_hi_u32 v4, v0, s0
	v_mul_u32_u24_e32 v4, 0x78, v4
	v_sub_u32_e32 v82, v0, v4
	s_movk_i32 s0, 0x48
	v_cmp_gt_u64_e32 vcc, s[12:13], v[8:9]
	v_cmp_gt_u32_e64 s[0:1], s0, v82
	s_and_b64 s[6:7], vcc, s[0:1]
	v_lshl_add_u64 v[54:55], v[2:3], 4, s[10:11]
                                        ; implicit-def: $vgpr8_vgpr9
	s_and_saveexec_b64 s[2:3], s[6:7]
	s_cbranch_execz .LBB0_11
; %bb.10:
	v_mad_u64_u32 v[2:3], s[6:7], s8, v82, 0
	v_mov_b32_e32 v0, v3
	v_mad_u64_u32 v[4:5], s[6:7], s9, v82, v[0:1]
	v_add_u32_e32 v6, 0x48, v82
	v_mov_b32_e32 v3, v4
	v_mad_u64_u32 v[4:5], s[6:7], s8, v6, 0
	v_mov_b32_e32 v0, v5
	v_mad_u64_u32 v[6:7], s[6:7], s9, v6, v[0:1]
	v_mov_b32_e32 v5, v6
	v_lshl_add_u64 v[2:3], v[2:3], 4, v[54:55]
	v_lshl_add_u64 v[4:5], v[4:5], 4, v[54:55]
	global_load_dwordx4 v[14:17], v[2:3], off
	global_load_dwordx4 v[6:9], v[4:5], off
	v_add_u32_e32 v4, 0x90, v82
	v_mad_u64_u32 v[2:3], s[6:7], s8, v4, 0
	v_mov_b32_e32 v0, v3
	v_mad_u64_u32 v[4:5], s[6:7], s9, v4, v[0:1]
	v_add_u32_e32 v10, 0xd8, v82
	v_mov_b32_e32 v3, v4
	v_mad_u64_u32 v[4:5], s[6:7], s8, v10, 0
	v_mov_b32_e32 v0, v5
	v_mad_u64_u32 v[10:11], s[6:7], s9, v10, v[0:1]
	v_mov_b32_e32 v5, v10
	v_lshl_add_u64 v[2:3], v[2:3], 4, v[54:55]
	v_lshl_add_u64 v[4:5], v[4:5], 4, v[54:55]
	global_load_dwordx4 v[22:25], v[2:3], off
	global_load_dwordx4 v[18:21], v[4:5], off
	v_add_u32_e32 v4, 0x120, v82
	;; [unrolled: 14-line block ×4, first 2 shown]
	v_mad_u64_u32 v[2:3], s[6:7], s8, v4, 0
	v_mov_b32_e32 v0, v3
	v_mad_u64_u32 v[4:5], s[6:7], s9, v4, v[0:1]
	v_add_u32_e32 v10, 0x288, v82
	v_mov_b32_e32 v3, v4
	v_mad_u64_u32 v[4:5], s[6:7], s8, v10, 0
	v_mov_b32_e32 v0, v5
	v_mad_u64_u32 v[10:11], s[6:7], s9, v10, v[0:1]
	v_lshl_add_u64 v[2:3], v[2:3], 4, v[54:55]
	v_mov_b32_e32 v5, v10
	v_lshl_add_u64 v[4:5], v[4:5], 4, v[54:55]
	global_load_dwordx4 v[46:49], v[2:3], off
	global_load_dwordx4 v[42:45], v[4:5], off
.LBB0_11:
	s_or_b64 exec, exec, s[2:3]
	s_waitcnt vmcnt(5)
	v_add_f64 v[2:3], v[22:23], -v[26:27]
	s_waitcnt vmcnt(1)
	v_add_f64 v[4:5], v[46:47], -v[38:39]
	v_add_f64 v[52:53], v[4:5], v[2:3]
	v_add_f64 v[2:3], v[26:27], -v[22:23]
	v_add_f64 v[4:5], v[38:39], -v[46:47]
	s_mov_b32 s6, 0x134454ff
	v_add_f64 v[64:65], v[4:5], v[2:3]
	v_add_f64 v[2:3], v[34:35], v[30:31]
	s_mov_b32 s7, 0x3fee6f0e
	s_mov_b32 s15, 0xbfee6f0e
	;; [unrolled: 1-line block ×4, first 2 shown]
	v_fma_f64 v[56:57], -0.5, v[2:3], v[6:7]
	s_waitcnt vmcnt(0)
	v_add_f64 v[2:3], v[20:21], -v[44:45]
	s_mov_b32 s11, 0x3fe2cf23
	s_mov_b32 s17, 0xbfe2cf23
	;; [unrolled: 1-line block ×4, first 2 shown]
	v_fma_f64 v[4:5], s[14:15], v[2:3], v[56:57]
	v_add_f64 v[12:13], v[32:33], -v[36:37]
	v_add_f64 v[10:11], v[18:19], -v[30:31]
	;; [unrolled: 1-line block ×3, first 2 shown]
	v_fmac_f64_e32 v[56:57], s[6:7], v[2:3]
	s_mov_b32 s13, 0x3fd3c6ef
	v_fmac_f64_e32 v[4:5], s[16:17], v[12:13]
	v_add_f64 v[10:11], v[50:51], v[10:11]
	v_fmac_f64_e32 v[56:57], s[10:11], v[12:13]
	v_fmac_f64_e32 v[4:5], s[12:13], v[10:11]
	;; [unrolled: 1-line block ×3, first 2 shown]
	v_add_f64 v[10:11], v[18:19], v[42:43]
	v_fma_f64 v[58:59], -0.5, v[10:11], v[6:7]
	v_add_f64 v[10:11], v[30:31], -v[18:19]
	v_add_f64 v[50:51], v[34:35], -v[42:43]
	v_add_f64 v[50:51], v[50:51], v[10:11]
	v_fma_f64 v[10:11], s[6:7], v[12:13], v[58:59]
	v_fmac_f64_e32 v[58:59], s[14:15], v[12:13]
	v_fmac_f64_e32 v[10:11], s[16:17], v[2:3]
	;; [unrolled: 1-line block ×3, first 2 shown]
	v_add_f64 v[2:3], v[36:37], v[32:33]
	v_fma_f64 v[60:61], -0.5, v[2:3], v[8:9]
	v_add_f64 v[2:3], v[20:21], -v[32:33]
	v_add_f64 v[12:13], v[44:45], -v[36:37]
	;; [unrolled: 1-line block ×3, first 2 shown]
	v_add_f64 v[2:3], v[12:13], v[2:3]
	v_fma_f64 v[12:13], s[6:7], v[66:67], v[60:61]
	v_add_f64 v[68:69], v[30:31], -v[34:35]
	v_fmac_f64_e32 v[60:61], s[14:15], v[66:67]
	v_fmac_f64_e32 v[12:13], s[10:11], v[68:69]
	v_fmac_f64_e32 v[60:61], s[16:17], v[68:69]
	v_fmac_f64_e32 v[10:11], s[12:13], v[50:51]
	v_fmac_f64_e32 v[58:59], s[12:13], v[50:51]
	v_fmac_f64_e32 v[12:13], s[12:13], v[2:3]
	v_fmac_f64_e32 v[60:61], s[12:13], v[2:3]
	v_add_f64 v[2:3], v[32:33], -v[20:21]
	v_add_f64 v[50:51], v[36:37], -v[44:45]
	v_and_b32_e32 v0, 1, v1
	v_add_f64 v[2:3], v[50:51], v[2:3]
	v_add_f64 v[50:51], v[20:21], v[44:45]
	v_mov_b32_e32 v1, 0x2d0
	v_cmp_eq_u32_e64 s[2:3], 1, v0
	v_fma_f64 v[62:63], -0.5, v[50:51], v[8:9]
	v_fma_f64 v[50:51], s[14:15], v[68:69], v[62:63]
	v_cndmask_b32_e64 v83, 0, v1, s[2:3]
	v_add_f64 v[0:1], v[26:27], v[38:39]
	v_fma_f64 v[76:77], -0.5, v[0:1], v[14:15]
	v_add_f64 v[0:1], v[46:47], v[22:23]
	v_fmac_f64_e32 v[62:63], s[6:7], v[68:69]
	v_fmac_f64_e32 v[50:51], s[10:11], v[66:67]
	v_add_f64 v[78:79], v[24:25], -v[48:49]
	v_add_f64 v[80:81], v[28:29], -v[40:41]
	v_fma_f64 v[74:75], -0.5, v[0:1], v[14:15]
	v_fmac_f64_e32 v[62:63], s[16:17], v[66:67]
	v_fmac_f64_e32 v[50:51], s[12:13], v[2:3]
	v_fma_f64 v[66:67], s[14:15], v[78:79], v[76:77]
	v_fma_f64 v[68:69], s[6:7], v[80:81], v[74:75]
	s_mov_b32 s2, 0x9b97f4a8
	v_fmac_f64_e32 v[66:67], s[16:17], v[80:81]
	v_fmac_f64_e32 v[68:69], s[16:17], v[78:79]
	s_mov_b32 s3, 0x3fe9e377
	v_mul_f64 v[70:71], v[12:13], s[16:17]
	v_mul_f64 v[72:73], v[50:51], s[14:15]
	v_fmac_f64_e32 v[66:67], s[12:13], v[52:53]
	v_fmac_f64_e32 v[68:69], s[12:13], v[64:65]
	;; [unrolled: 1-line block ×5, first 2 shown]
	v_add_f64 v[0:1], v[66:67], -v[70:71]
	v_add_f64 v[2:3], v[68:69], -v[72:73]
	v_lshlrev_b32_e32 v83, 3, v83
	s_and_saveexec_b64 s[18:19], s[0:1]
	s_cbranch_execz .LBB0_13
; %bb.12:
	v_mul_f64 v[84:85], v[78:79], s[6:7]
	v_mul_f64 v[86:87], v[80:81], s[10:11]
	v_mul_f64 v[80:81], v[80:81], s[6:7]
	v_add_f64 v[14:15], v[22:23], v[14:15]
	v_add_f64 v[6:7], v[6:7], v[18:19]
	v_mul_f64 v[78:79], v[78:79], s[10:11]
	v_add_f64 v[76:77], v[84:85], v[76:77]
	v_mul_f64 v[84:85], v[60:61], s[16:17]
	s_mov_b32 s17, 0xbfe9e377
	s_mov_b32 s16, s2
	v_add_f64 v[74:75], v[74:75], -v[80:81]
	v_add_f64 v[14:15], v[26:27], v[14:15]
	v_add_f64 v[6:7], v[6:7], v[30:31]
	v_mul_f64 v[64:65], v[64:65], s[12:13]
	v_add_f64 v[76:77], v[86:87], v[76:77]
	v_fmac_f64_e32 v[84:85], s[16:17], v[56:57]
	v_add_f64 v[74:75], v[78:79], v[74:75]
	v_mul_f64 v[86:87], v[62:63], s[14:15]
	s_mov_b32 s17, 0xbfd3c6ef
	s_mov_b32 s16, s12
	v_add_f64 v[14:15], v[38:39], v[14:15]
	v_add_f64 v[6:7], v[34:35], v[6:7]
	;; [unrolled: 1-line block ×3, first 2 shown]
	v_fmac_f64_e32 v[86:87], s[16:17], v[58:59]
	v_add_f64 v[14:15], v[46:47], v[14:15]
	v_add_f64 v[6:7], v[42:43], v[6:7]
	v_add_f64 v[74:75], v[64:65], -v[86:87]
	v_add_f64 v[80:81], v[14:15], -v[6:7]
	v_add_f64 v[86:87], v[86:87], v[64:65]
	v_add_f64 v[64:65], v[6:7], v[14:15]
	v_mul_u32_u24_e32 v6, 10, v82
	v_mul_f64 v[52:53], v[52:53], s[12:13]
	v_lshlrev_b32_e32 v6, 3, v6
	v_add_f64 v[52:53], v[52:53], v[76:77]
	v_add_f64 v[66:67], v[66:67], v[70:71]
	v_add3_u32 v6, 0, v6, v83
	v_add_f64 v[76:77], v[52:53], -v[84:85]
	v_add_f64 v[78:79], v[52:53], v[84:85]
	v_add_f64 v[84:85], v[72:73], v[68:69]
	ds_write_b128 v6, v[64:67]
	ds_write_b128 v6, v[84:87] offset:16
	ds_write_b128 v6, v[78:81] offset:32
	;; [unrolled: 1-line block ×4, first 2 shown]
.LBB0_13:
	s_or_b64 exec, exec, s[18:19]
	v_add_f64 v[6:7], v[28:29], v[40:41]
	v_fma_f64 v[30:31], -0.5, v[6:7], v[16:17]
	v_add_f64 v[6:7], v[24:25], -v[28:29]
	v_add_f64 v[14:15], v[48:49], -v[40:41]
	v_add_f64 v[66:67], v[14:15], v[6:7]
	v_add_f64 v[6:7], v[48:49], v[24:25]
	v_add_f64 v[34:35], v[22:23], -v[46:47]
	v_fma_f64 v[46:47], -0.5, v[6:7], v[16:17]
	v_add_f64 v[6:7], v[28:29], -v[24:25]
	v_add_f64 v[14:15], v[40:41], -v[48:49]
	v_add_f64 v[68:69], v[14:15], v[6:7]
	v_lshlrev_b32_e32 v6, 3, v82
	v_add_u32_e32 v73, 0, v6
	v_add_u32_e32 v71, v73, v83
	v_add_f64 v[64:65], v[26:27], -v[38:39]
	v_mul_f64 v[38:39], v[4:5], s[10:11]
	v_mul_f64 v[42:43], v[50:51], s[12:13]
	v_add_u32_e32 v72, 0x800, v71
	v_fmac_f64_e32 v[38:39], s[2:3], v[12:13]
	v_fmac_f64_e32 v[42:43], s[6:7], v[10:11]
	s_waitcnt lgkmcnt(0)
	s_barrier
	v_add3_u32 v70, 0, v83, v6
	ds_read2_b64 v[12:15], v71 offset0:120 offset1:240
	ds_read2_b64 v[50:53], v72 offset0:104 offset1:224
	ds_read_b64 v[10:11], v70
	ds_read_b64 v[22:23], v71 offset:4800
	v_fma_f64 v[18:19], s[6:7], v[34:35], v[30:31]
	v_fma_f64 v[26:27], s[14:15], v[64:65], v[46:47]
	v_fmac_f64_e32 v[18:19], s[10:11], v[64:65]
	v_fmac_f64_e32 v[26:27], s[10:11], v[34:35]
	;; [unrolled: 1-line block ×4, first 2 shown]
	v_add_f64 v[4:5], v[18:19], -v[38:39]
	v_add_f64 v[6:7], v[26:27], -v[42:43]
	s_waitcnt lgkmcnt(0)
	s_barrier
	s_and_saveexec_b64 s[2:3], s[0:1]
	s_cbranch_execz .LBB0_15
; %bb.14:
	v_add_f64 v[16:17], v[24:25], v[16:17]
	s_mov_b32 s0, 0x372fe950
	v_add_f64 v[16:17], v[28:29], v[16:17]
	s_mov_b32 s1, 0xbfd3c6ef
	v_mul_f64 v[74:75], v[34:35], s[6:7]
	v_add_f64 v[16:17], v[40:41], v[16:17]
	v_add_f64 v[8:9], v[8:9], v[20:21]
	v_mul_f64 v[20:21], v[62:63], s[0:1]
	s_mov_b32 s0, 0x134454ff
	v_mul_f64 v[76:77], v[64:65], s[10:11]
	v_add_f64 v[40:41], v[48:49], v[16:17]
	v_add_f64 v[16:17], v[30:31], -v[74:75]
	s_mov_b32 s1, 0x3fee6f0e
	v_mul_f64 v[66:67], v[66:67], s[12:13]
	v_mul_f64 v[64:65], v[64:65], s[6:7]
	v_add_f64 v[16:17], v[16:17], -v[76:77]
	v_add_f64 v[8:9], v[8:9], v[32:33]
	v_fmac_f64_e32 v[20:21], s[0:1], v[58:59]
	s_mov_b32 s0, 0x9b97f4a8
	v_mul_f64 v[34:35], v[34:35], s[10:11]
	v_add_f64 v[48:49], v[66:67], v[16:17]
	v_add_f64 v[16:17], v[64:65], v[46:47]
	;; [unrolled: 1-line block ×3, first 2 shown]
	s_mov_b32 s1, 0xbfe9e377
	v_mul_f64 v[68:69], v[68:69], s[12:13]
	v_add_f64 v[16:17], v[16:17], -v[34:35]
	v_add_f64 v[8:9], v[44:45], v[8:9]
	v_mul_f64 v[36:37], v[60:61], s[0:1]
	s_mov_b32 s0, 0x4755a5e
	v_add_f64 v[34:35], v[68:69], v[16:17]
	v_add_f64 v[16:17], v[8:9], v[40:41]
	s_mov_b32 s1, 0x3fe2cf23
	v_add_f64 v[30:31], v[40:41], -v[8:9]
	v_mul_u32_u24_e32 v8, 0x48, v82
	v_add_f64 v[18:19], v[18:19], v[38:39]
	v_fmac_f64_e32 v[36:37], s[0:1], v[56:57]
	v_add3_u32 v8, v73, v8, v83
	v_add_f64 v[24:25], v[26:27], v[42:43]
	v_add_f64 v[26:27], v[34:35], v[20:21]
	;; [unrolled: 1-line block ×3, first 2 shown]
	v_add_f64 v[32:33], v[34:35], -v[20:21]
	v_add_f64 v[34:35], v[48:49], -v[36:37]
	ds_write_b128 v8, v[16:19]
	ds_write_b128 v8, v[24:27] offset:16
	ds_write_b128 v8, v[28:31] offset:32
	;; [unrolled: 1-line block ×4, first 2 shown]
.LBB0_15:
	s_or_b64 exec, exec, s[2:3]
	s_movk_i32 s0, 0xcd
	v_mul_lo_u16_sdwa v8, v82, s0 dst_sel:DWORD dst_unused:UNUSED_PAD src0_sel:BYTE_0 src1_sel:DWORD
	v_lshrrev_b16_e32 v24, 11, v8
	v_mul_lo_u16_e32 v8, 10, v24
	v_sub_u16_e32 v25, v82, v8
	v_mov_b32_e32 v8, 5
	v_add_u32_e32 v46, 0x78, v82
	v_lshlrev_b32_sdwa v9, v8, v25 dst_sel:DWORD dst_unused:UNUSED_PAD src0_sel:DWORD src1_sel:BYTE_0
	s_waitcnt lgkmcnt(0)
	s_barrier
	global_load_dwordx4 v[34:37], v9, s[4:5] offset:16
	global_load_dwordx4 v[38:41], v9, s[4:5]
	v_mul_lo_u16_sdwa v9, v46, s0 dst_sel:DWORD dst_unused:UNUSED_PAD src0_sel:BYTE_0 src1_sel:DWORD
	v_lshrrev_b16_e32 v26, 11, v9
	v_mul_lo_u16_e32 v9, 10, v26
	v_sub_u16_e32 v27, v46, v9
	v_lshlrev_b32_sdwa v8, v8, v27 dst_sel:DWORD dst_unused:UNUSED_PAD src0_sel:DWORD src1_sel:BYTE_0
	global_load_dwordx4 v[56:59], v8, s[4:5]
	global_load_dwordx4 v[60:63], v8, s[4:5] offset:16
	ds_read2_b64 v[18:21], v71 offset0:120 offset1:240
	ds_read2_b64 v[64:67], v72 offset0:104 offset1:224
	ds_read_b64 v[16:17], v70
	ds_read_b64 v[8:9], v71 offset:4800
	s_movk_i32 s0, 0xf0
	v_mov_b32_e32 v28, 3
	v_mad_u32_u24 v26, v26, s0, 0
	v_lshlrev_b32_sdwa v27, v28, v27 dst_sel:DWORD dst_unused:UNUSED_PAD src0_sel:DWORD src1_sel:BYTE_0
	v_mad_u32_u24 v24, v24, s0, 0
	v_lshlrev_b32_sdwa v25, v28, v25 dst_sel:DWORD dst_unused:UNUSED_PAD src0_sel:DWORD src1_sel:BYTE_0
	v_add3_u32 v44, v26, v27, v83
	v_add3_u32 v45, v24, v25, v83
	s_mov_b32 s2, 0xe8584caa
	s_mov_b32 s3, 0xbfebb67a
	;; [unrolled: 1-line block ×3, first 2 shown]
	s_movk_i32 s1, 0x5a
	s_mov_b32 s6, s2
	v_cmp_gt_u32_e64 s[0:1], s1, v82
	s_waitcnt lgkmcnt(0)
	s_barrier
	s_waitcnt vmcnt(3)
	v_mul_f64 v[32:33], v[66:67], v[36:37]
	s_waitcnt vmcnt(2)
	v_mul_f64 v[26:27], v[20:21], v[40:41]
	v_mul_f64 v[24:25], v[14:15], v[40:41]
	;; [unrolled: 1-line block ×3, first 2 shown]
	v_fmac_f64_e32 v[26:27], v[14:15], v[38:39]
	v_fmac_f64_e32 v[32:33], v[52:53], v[34:35]
	s_waitcnt vmcnt(1)
	v_mul_f64 v[28:29], v[64:65], v[58:59]
	s_waitcnt vmcnt(0)
	v_mul_f64 v[30:31], v[8:9], v[62:63]
	v_mul_f64 v[48:49], v[50:51], v[58:59]
	;; [unrolled: 1-line block ×3, first 2 shown]
	v_fmac_f64_e32 v[28:29], v[50:51], v[56:57]
	v_fmac_f64_e32 v[30:31], v[22:23], v[60:61]
	v_fma_f64 v[40:41], v[20:21], v[38:39], -v[24:25]
	v_fma_f64 v[42:43], v[66:67], v[34:35], -v[36:37]
	v_fma_f64 v[20:21], v[64:65], v[56:57], -v[48:49]
	v_fma_f64 v[38:39], v[8:9], v[60:61], -v[58:59]
	v_add_f64 v[14:15], v[26:27], v[32:33]
	v_add_f64 v[36:37], v[28:29], v[30:31]
	;; [unrolled: 1-line block ×3, first 2 shown]
	v_add_f64 v[24:25], v[40:41], -v[42:43]
	v_add_f64 v[22:23], v[12:13], v[28:29]
	v_add_f64 v[48:49], v[20:21], -v[38:39]
	v_fmac_f64_e32 v[10:11], -0.5, v[14:15]
	v_fmac_f64_e32 v[12:13], -0.5, v[36:37]
	v_add_f64 v[34:35], v[8:9], v[32:33]
	v_add_f64 v[22:23], v[22:23], v[30:31]
	v_fma_f64 v[8:9], s[2:3], v[24:25], v[10:11]
	v_fmac_f64_e32 v[10:11], s[6:7], v[24:25]
	v_fma_f64 v[24:25], s[2:3], v[48:49], v[12:13]
	v_fmac_f64_e32 v[12:13], s[6:7], v[48:49]
	ds_write2_b64 v45, v[34:35], v[8:9] offset1:10
	ds_write_b64 v45, v[10:11] offset:160
	ds_write2_b64 v44, v[22:23], v[24:25] offset1:10
	ds_write_b64 v44, v[12:13] offset:160
	s_waitcnt lgkmcnt(0)
	s_barrier
	s_and_saveexec_b64 s[10:11], s[0:1]
	s_cbranch_execz .LBB0_17
; %bb.16:
	v_add_u32_e32 v0, 0x800, v71
	ds_read2_b64 v[8:11], v71 offset0:90 offset1:180
	ds_read2_b64 v[22:25], v0 offset0:14 offset1:104
	v_add_u32_e32 v0, 0xc00, v71
	ds_read2_b64 v[12:15], v0 offset0:66 offset1:156
	ds_read_b64 v[34:35], v70
	ds_read_b64 v[2:3], v71 offset:5040
	s_waitcnt lgkmcnt(2)
	v_mov_b64_e32 v[0:1], v[14:15]
.LBB0_17:
	s_or_b64 exec, exec, s[10:11]
	v_add_f64 v[14:15], v[16:17], v[40:41]
	v_add_f64 v[36:37], v[14:15], v[42:43]
	;; [unrolled: 1-line block ×3, first 2 shown]
	v_fmac_f64_e32 v[16:17], -0.5, v[14:15]
	v_add_f64 v[26:27], v[26:27], -v[32:33]
	v_fma_f64 v[14:15], s[6:7], v[26:27], v[16:17]
	v_fmac_f64_e32 v[16:17], s[2:3], v[26:27]
	v_add_f64 v[26:27], v[18:19], v[20:21]
	v_add_f64 v[20:21], v[20:21], v[38:39]
	v_fmac_f64_e32 v[18:19], -0.5, v[20:21]
	v_add_f64 v[20:21], v[28:29], -v[30:31]
	v_add_f64 v[26:27], v[26:27], v[38:39]
	v_fma_f64 v[28:29], s[6:7], v[20:21], v[18:19]
	v_fmac_f64_e32 v[18:19], s[2:3], v[20:21]
	s_waitcnt lgkmcnt(0)
	s_barrier
	ds_write2_b64 v45, v[36:37], v[14:15] offset1:10
	ds_write_b64 v45, v[16:17] offset:160
	ds_write2_b64 v44, v[26:27], v[28:29] offset1:10
	ds_write_b64 v44, v[18:19] offset:160
	s_waitcnt lgkmcnt(0)
	s_barrier
	s_and_saveexec_b64 s[2:3], s[0:1]
	s_cbranch_execz .LBB0_19
; %bb.18:
	v_add_u32_e32 v4, 0x800, v71
	ds_read2_b64 v[14:17], v71 offset0:90 offset1:180
	ds_read2_b64 v[26:29], v4 offset0:14 offset1:104
	v_add_u32_e32 v4, 0xc00, v71
	ds_read2_b64 v[18:21], v4 offset0:66 offset1:156
	ds_read_b64 v[36:37], v70
	ds_read_b64 v[6:7], v71 offset:5040
	s_waitcnt lgkmcnt(2)
	v_mov_b64_e32 v[4:5], v[20:21]
.LBB0_19:
	s_or_b64 exec, exec, s[2:3]
	s_movk_i32 s2, 0x89
	v_mul_lo_u16_sdwa v20, v82, s2 dst_sel:DWORD dst_unused:UNUSED_PAD src0_sel:BYTE_0 src1_sel:DWORD
	v_lshrrev_b16_e32 v47, 12, v20
	v_mul_lo_u16_e32 v20, 30, v47
	v_sub_u16_e32 v48, v82, v20
	v_mov_b32_e32 v20, 7
	v_mul_u32_u24_sdwa v20, v48, v20 dst_sel:DWORD dst_unused:UNUSED_PAD src0_sel:BYTE_0 src1_sel:DWORD
	v_lshlrev_b32_e32 v20, 4, v20
	global_load_dwordx4 v[38:41], v20, s[4:5] offset:320
	global_load_dwordx4 v[50:53], v20, s[4:5] offset:336
	;; [unrolled: 1-line block ×7, first 2 shown]
	s_mov_b32 s2, 0x667f3bcd
	s_mov_b32 s3, 0x3fe6a09e
	s_waitcnt lgkmcnt(0)
	s_barrier
	s_waitcnt vmcnt(6)
	v_mul_f64 v[20:21], v[14:15], v[40:41]
	v_mul_f64 v[40:41], v[8:9], v[40:41]
	s_waitcnt vmcnt(5)
	v_mul_f64 v[44:45], v[16:17], v[52:53]
	v_mul_f64 v[42:43], v[10:11], v[52:53]
	;; [unrolled: 3-line block ×5, first 2 shown]
	v_mul_f64 v[76:77], v[4:5], v[66:67]
	v_mul_f64 v[66:67], v[0:1], v[66:67]
	v_fmac_f64_e32 v[20:21], v[8:9], v[38:39]
	v_fma_f64 v[8:9], v[14:15], v[38:39], -v[40:41]
	v_fmac_f64_e32 v[44:45], v[10:11], v[50:51]
	v_fmac_f64_e32 v[52:53], v[22:23], v[56:57]
	v_fma_f64 v[10:11], v[26:27], v[56:57], -v[58:59]
	v_fmac_f64_e32 v[68:69], v[12:13], v[60:61]
	v_fma_f64 v[18:19], v[18:19], v[60:61], -v[62:63]
	;; [unrolled: 2-line block ×4, first 2 shown]
	v_add_f64 v[4:5], v[20:21], -v[68:69]
	v_add_f64 v[6:7], v[8:9], -v[18:19]
	;; [unrolled: 1-line block ×4, first 2 shown]
	v_fma_f64 v[14:15], v[16:17], v[50:51], -v[42:43]
	v_fma_f64 v[10:11], v[10:11], 2.0, -v[2:3]
	v_add_f64 v[2:3], v[4:5], v[2:3]
	v_add_f64 v[26:27], v[6:7], -v[18:19]
	v_add_f64 v[16:17], v[14:15], -v[0:1]
	v_fma_f64 v[0:1], v[20:21], 2.0, -v[4:5]
	v_fma_f64 v[20:21], v[8:9], 2.0, -v[6:7]
	;; [unrolled: 1-line block ×5, first 2 shown]
	v_add_f64 v[12:13], v[44:45], -v[76:77]
	v_add_f64 v[18:19], v[0:1], -v[8:9]
	;; [unrolled: 1-line block ×3, first 2 shown]
	v_mul_f64 v[22:23], v[2:3], s[2:3]
	v_mul_f64 v[26:27], v[26:27], s[2:3]
	;; [unrolled: 1-line block ×4, first 2 shown]
	s_and_saveexec_b64 s[2:3], s[0:1]
	s_cbranch_execz .LBB0_21
; %bb.20:
	s_waitcnt vmcnt(0)
	v_mul_f64 v[2:3], v[28:29], v[32:33]
	v_fmac_f64_e32 v[2:3], v[24:25], v[30:31]
	v_add_f64 v[2:3], v[34:35], -v[2:3]
	v_add_f64 v[4:5], v[2:3], v[16:17]
	v_fma_f64 v[10:11], v[34:35], 2.0, -v[2:3]
	v_fma_f64 v[34:35], v[44:45], 2.0, -v[12:13]
	v_add_f64 v[6:7], v[4:5], v[22:23]
	v_add_f64 v[34:35], v[10:11], -v[34:35]
	v_add_f64 v[6:7], v[26:27], v[6:7]
	v_add_f64 v[44:45], v[34:35], v[38:39]
	v_fma_f64 v[2:3], v[2:3], 2.0, -v[4:5]
	v_fma_f64 v[8:9], v[4:5], 2.0, -v[6:7]
	;; [unrolled: 1-line block ×3, first 2 shown]
	v_add_f64 v[4:5], v[2:3], -v[40:41]
	v_fma_f64 v[10:11], v[10:11], 2.0, -v[34:35]
	v_fma_f64 v[0:1], v[0:1], 2.0, -v[18:19]
	s_movk_i32 s6, 0x780
	v_mov_b32_e32 v35, 3
	v_add_f64 v[4:5], v[42:43], v[4:5]
	v_add_f64 v[0:1], v[10:11], -v[0:1]
	v_mad_u32_u24 v34, v47, s6, 0
	v_lshlrev_b32_sdwa v35, v35, v48 dst_sel:DWORD dst_unused:UNUSED_PAD src0_sel:DWORD src1_sel:BYTE_0
	v_fma_f64 v[2:3], v[2:3], 2.0, -v[4:5]
	v_fma_f64 v[10:11], v[10:11], 2.0, -v[0:1]
	v_add3_u32 v34, v34, v35, v83
	ds_write2_b64 v34, v[10:11], v[2:3] offset1:30
	ds_write2_b64 v34, v[50:51], v[8:9] offset0:60 offset1:90
	ds_write2_b64 v34, v[0:1], v[4:5] offset0:120 offset1:150
	;; [unrolled: 1-line block ×3, first 2 shown]
.LBB0_21:
	s_or_b64 exec, exec, s[2:3]
	v_add_u32_e32 v4, 0x800, v71
	s_waitcnt lgkmcnt(0)
	s_barrier
	ds_read2_b64 v[0:3], v71 offset0:120 offset1:240
	ds_read2_b64 v[4:7], v4 offset0:104 offset1:224
	ds_read_b64 v[8:9], v70
	ds_read_b64 v[10:11], v71 offset:4800
	s_waitcnt lgkmcnt(0)
	s_barrier
	s_and_saveexec_b64 s[2:3], s[0:1]
	s_cbranch_execz .LBB0_23
; %bb.22:
	s_waitcnt vmcnt(0)
	v_mul_f64 v[24:25], v[24:25], v[32:33]
	v_fma_f64 v[24:25], v[28:29], v[30:31], -v[24:25]
	v_add_f64 v[24:25], v[36:37], -v[24:25]
	v_fma_f64 v[28:29], v[36:37], 2.0, -v[24:25]
	v_fma_f64 v[14:15], v[14:15], 2.0, -v[16:17]
	v_add_f64 v[12:13], v[24:25], -v[12:13]
	v_add_f64 v[14:15], v[28:29], -v[14:15]
	v_fma_f64 v[24:25], v[24:25], 2.0, -v[12:13]
	v_add_f64 v[26:27], v[12:13], v[26:27]
	v_fma_f64 v[16:17], v[28:29], 2.0, -v[14:15]
	v_fma_f64 v[20:21], v[20:21], 2.0, -v[38:39]
	v_add_f64 v[28:29], v[24:25], -v[42:43]
	v_add_f64 v[22:23], v[26:27], -v[22:23]
	s_movk_i32 s0, 0x780
	v_mov_b32_e32 v27, 3
	v_add_f64 v[20:21], v[16:17], -v[20:21]
	v_add_f64 v[28:29], v[28:29], -v[40:41]
	v_mad_u32_u24 v26, v47, s0, 0
	v_lshlrev_b32_sdwa v27, v27, v48 dst_sel:DWORD dst_unused:UNUSED_PAD src0_sel:DWORD src1_sel:BYTE_0
	v_fma_f64 v[16:17], v[16:17], 2.0, -v[20:21]
	v_fma_f64 v[24:25], v[24:25], 2.0, -v[28:29]
	v_add_f64 v[18:19], v[14:15], -v[18:19]
	v_add3_u32 v26, v26, v27, v83
	v_fma_f64 v[14:15], v[14:15], 2.0, -v[18:19]
	v_fma_f64 v[12:13], v[12:13], 2.0, -v[22:23]
	ds_write2_b64 v26, v[16:17], v[24:25] offset1:30
	ds_write2_b64 v26, v[14:15], v[12:13] offset0:60 offset1:90
	ds_write2_b64 v26, v[20:21], v[28:29] offset0:120 offset1:150
	;; [unrolled: 1-line block ×3, first 2 shown]
.LBB0_23:
	s_or_b64 exec, exec, s[2:3]
	s_waitcnt lgkmcnt(0)
	s_barrier
	s_and_saveexec_b64 s[0:1], vcc
	s_cbranch_execz .LBB0_25
; %bb.24:
	v_lshlrev_b32_e32 v20, 1, v46
	v_mov_b32_e32 v21, 0
	v_lshl_add_u64 v[22:23], v[20:21], 4, s[4:5]
	v_lshlrev_b32_e32 v20, 1, v82
	global_load_dwordx4 v[12:15], v[22:23], off offset:3680
	global_load_dwordx4 v[16:19], v[22:23], off offset:3696
	v_lshl_add_u64 v[28:29], v[20:21], 4, s[4:5]
	global_load_dwordx4 v[20:23], v[28:29], off offset:3680
	global_load_dwordx4 v[24:27], v[28:29], off offset:3696
	s_waitcnt vmcnt(4)
	v_add_u32_e32 v32, 0x800, v71
	ds_read2_b64 v[28:31], v71 offset0:120 offset1:240
	ds_read_b64 v[36:37], v71 offset:4800
	ds_read_b64 v[38:39], v70
	v_mad_u64_u32 v[40:41], s[4:5], s8, v82, 0
	v_add_u32_e32 v47, 0xf0, v82
	v_add_u32_e32 v51, 0x1e0, v82
	ds_read2_b64 v[32:35], v32 offset0:104 offset1:224
	v_mov_b32_e32 v42, v41
	v_mad_u64_u32 v[44:45], s[4:5], s8, v47, 0
	v_mad_u64_u32 v[48:49], s[4:5], s8, v51, 0
	;; [unrolled: 1-line block ×3, first 2 shown]
	v_mov_b32_e32 v50, v45
	v_mov_b32_e32 v52, v49
	;; [unrolled: 1-line block ×3, first 2 shown]
	v_mad_u64_u32 v[42:43], s[4:5], s9, v47, v[50:51]
	v_mad_u64_u32 v[50:51], s[4:5], s9, v51, v[52:53]
	v_mov_b32_e32 v45, v42
	v_mov_b32_e32 v49, v50
	v_lshl_add_u64 v[42:43], v[44:45], 4, v[54:55]
	v_lshl_add_u64 v[44:45], v[48:49], 4, v[54:55]
	s_mov_b32 s0, 0xe8584caa
	s_mov_b32 s1, 0xbfebb67a
	;; [unrolled: 1-line block ×4, first 2 shown]
	s_movk_i32 s6, 0x1e0
	v_lshl_add_u64 v[40:41], v[40:41], 4, v[54:55]
	s_waitcnt vmcnt(3)
	v_mul_f64 v[48:49], v[4:5], v[14:15]
	s_waitcnt vmcnt(2)
	v_mul_f64 v[50:51], v[10:11], v[18:19]
	s_waitcnt lgkmcnt(0)
	v_mul_f64 v[14:15], v[32:33], v[14:15]
	v_mul_f64 v[18:19], v[36:37], v[18:19]
	v_fma_f64 v[32:33], v[32:33], v[12:13], -v[48:49]
	v_fmac_f64_e32 v[14:15], v[4:5], v[12:13]
	v_fmac_f64_e32 v[18:19], v[10:11], v[16:17]
	s_waitcnt vmcnt(1)
	v_mul_f64 v[4:5], v[2:3], v[22:23]
	s_waitcnt vmcnt(0)
	v_mul_f64 v[10:11], v[6:7], v[26:27]
	v_mul_f64 v[12:13], v[30:31], v[22:23]
	v_mul_f64 v[22:23], v[34:35], v[26:27]
	v_fma_f64 v[36:37], v[36:37], v[16:17], -v[50:51]
	v_add_f64 v[26:27], v[14:15], -v[18:19]
	v_add_f64 v[50:51], v[14:15], v[18:19]
	v_add_f64 v[14:15], v[0:1], v[14:15]
	v_fma_f64 v[30:31], v[30:31], v[20:21], -v[4:5]
	v_fma_f64 v[34:35], v[34:35], v[24:25], -v[10:11]
	v_fmac_f64_e32 v[12:13], v[2:3], v[20:21]
	v_fmac_f64_e32 v[22:23], v[6:7], v[24:25]
	v_add_f64 v[16:17], v[32:33], v[36:37]
	v_add_f64 v[48:49], v[28:29], v[32:33]
	;; [unrolled: 1-line block ×5, first 2 shown]
	v_add_f64 v[32:33], v[32:33], -v[36:37]
	v_fma_f64 v[2:3], -0.5, v[16:17], v[28:29]
	v_add_f64 v[6:7], v[48:49], v[36:37]
	v_fma_f64 v[0:1], -0.5, v[50:51], v[0:1]
	v_add_f64 v[28:29], v[12:13], -v[22:23]
	v_add_f64 v[18:19], v[38:39], v[30:31]
	v_add_f64 v[30:31], v[30:31], -v[34:35]
	v_add_f64 v[36:37], v[8:9], v[12:13]
	v_fma_f64 v[16:17], -0.5, v[14:15], v[38:39]
	v_fma_f64 v[14:15], -0.5, v[24:25], v[8:9]
	v_fma_f64 v[12:13], s[0:1], v[26:27], v[2:3]
	v_fma_f64 v[10:11], s[2:3], v[32:33], v[0:1]
	v_fmac_f64_e32 v[0:1], s[0:1], v[32:33]
	v_add_f64 v[20:21], v[18:19], v[34:35]
	v_add_f64 v[18:19], v[36:37], v[22:23]
	v_fma_f64 v[24:25], s[0:1], v[28:29], v[16:17]
	v_fma_f64 v[22:23], s[2:3], v[30:31], v[14:15]
	v_fmac_f64_e32 v[14:15], s[0:1], v[30:31]
	s_mov_b32 s0, 0x88888889
	v_mul_hi_u32 v8, v46, s0
	v_fmac_f64_e32 v[16:17], s[2:3], v[28:29]
	v_lshrrev_b32_e32 v8, 7, v8
	global_store_dwordx4 v[40:41], v[18:21], off
	global_store_dwordx4 v[42:43], v[14:17], off
	;; [unrolled: 1-line block ×3, first 2 shown]
	v_fmac_f64_e32 v[2:3], s[2:3], v[26:27]
	v_mad_u32_u24 v16, v8, s6, v46
	v_mad_u64_u32 v[8:9], s[0:1], s8, v16, 0
	v_mov_b32_e32 v14, v9
	v_mad_u64_u32 v[14:15], s[0:1], s9, v16, v[14:15]
	v_mov_b32_e32 v9, v14
	v_lshl_add_u64 v[8:9], v[8:9], 4, v[54:55]
	global_store_dwordx4 v[8:9], v[4:7], off
	s_nop 1
	v_add_u32_e32 v7, 0xf0, v16
	v_mad_u64_u32 v[4:5], s[0:1], s8, v7, 0
	v_mov_b32_e32 v6, v5
	v_mad_u64_u32 v[6:7], s[0:1], s9, v7, v[6:7]
	v_mov_b32_e32 v5, v6
	v_lshl_add_u64 v[4:5], v[4:5], 4, v[54:55]
	global_store_dwordx4 v[4:5], v[0:3], off
	s_nop 1
	v_add_u32_e32 v3, 0x1e0, v16
	v_mad_u64_u32 v[0:1], s[0:1], s8, v3, 0
	v_mov_b32_e32 v2, v1
	v_mad_u64_u32 v[2:3], s[0:1], s9, v3, v[2:3]
	v_mov_b32_e32 v1, v2
	v_lshl_add_u64 v[0:1], v[0:1], 4, v[54:55]
	global_store_dwordx4 v[0:1], v[10:13], off
.LBB0_25:
	s_endpgm
	.section	.rodata,"a",@progbits
	.p2align	6, 0x0
	.amdhsa_kernel fft_rtc_back_len720_factors_10_3_8_3_wgs_240_tpt_120_halfLds_dp_ip_CI_sbrr_dirReg
		.amdhsa_group_segment_fixed_size 0
		.amdhsa_private_segment_fixed_size 0
		.amdhsa_kernarg_size 88
		.amdhsa_user_sgpr_count 2
		.amdhsa_user_sgpr_dispatch_ptr 0
		.amdhsa_user_sgpr_queue_ptr 0
		.amdhsa_user_sgpr_kernarg_segment_ptr 1
		.amdhsa_user_sgpr_dispatch_id 0
		.amdhsa_user_sgpr_kernarg_preload_length 0
		.amdhsa_user_sgpr_kernarg_preload_offset 0
		.amdhsa_user_sgpr_private_segment_size 0
		.amdhsa_uses_dynamic_stack 0
		.amdhsa_enable_private_segment 0
		.amdhsa_system_sgpr_workgroup_id_x 1
		.amdhsa_system_sgpr_workgroup_id_y 0
		.amdhsa_system_sgpr_workgroup_id_z 0
		.amdhsa_system_sgpr_workgroup_info 0
		.amdhsa_system_vgpr_workitem_id 0
		.amdhsa_next_free_vgpr 88
		.amdhsa_next_free_sgpr 24
		.amdhsa_accum_offset 88
		.amdhsa_reserve_vcc 1
		.amdhsa_float_round_mode_32 0
		.amdhsa_float_round_mode_16_64 0
		.amdhsa_float_denorm_mode_32 3
		.amdhsa_float_denorm_mode_16_64 3
		.amdhsa_dx10_clamp 1
		.amdhsa_ieee_mode 1
		.amdhsa_fp16_overflow 0
		.amdhsa_tg_split 0
		.amdhsa_exception_fp_ieee_invalid_op 0
		.amdhsa_exception_fp_denorm_src 0
		.amdhsa_exception_fp_ieee_div_zero 0
		.amdhsa_exception_fp_ieee_overflow 0
		.amdhsa_exception_fp_ieee_underflow 0
		.amdhsa_exception_fp_ieee_inexact 0
		.amdhsa_exception_int_div_zero 0
	.end_amdhsa_kernel
	.text
.Lfunc_end0:
	.size	fft_rtc_back_len720_factors_10_3_8_3_wgs_240_tpt_120_halfLds_dp_ip_CI_sbrr_dirReg, .Lfunc_end0-fft_rtc_back_len720_factors_10_3_8_3_wgs_240_tpt_120_halfLds_dp_ip_CI_sbrr_dirReg
                                        ; -- End function
	.section	.AMDGPU.csdata,"",@progbits
; Kernel info:
; codeLenInByte = 5884
; NumSgprs: 30
; NumVgprs: 88
; NumAgprs: 0
; TotalNumVgprs: 88
; ScratchSize: 0
; MemoryBound: 1
; FloatMode: 240
; IeeeMode: 1
; LDSByteSize: 0 bytes/workgroup (compile time only)
; SGPRBlocks: 3
; VGPRBlocks: 10
; NumSGPRsForWavesPerEU: 30
; NumVGPRsForWavesPerEU: 88
; AccumOffset: 88
; Occupancy: 5
; WaveLimiterHint : 1
; COMPUTE_PGM_RSRC2:SCRATCH_EN: 0
; COMPUTE_PGM_RSRC2:USER_SGPR: 2
; COMPUTE_PGM_RSRC2:TRAP_HANDLER: 0
; COMPUTE_PGM_RSRC2:TGID_X_EN: 1
; COMPUTE_PGM_RSRC2:TGID_Y_EN: 0
; COMPUTE_PGM_RSRC2:TGID_Z_EN: 0
; COMPUTE_PGM_RSRC2:TIDIG_COMP_CNT: 0
; COMPUTE_PGM_RSRC3_GFX90A:ACCUM_OFFSET: 21
; COMPUTE_PGM_RSRC3_GFX90A:TG_SPLIT: 0
	.text
	.p2alignl 6, 3212836864
	.fill 256, 4, 3212836864
	.type	__hip_cuid_34de228ce904d0ec,@object ; @__hip_cuid_34de228ce904d0ec
	.section	.bss,"aw",@nobits
	.globl	__hip_cuid_34de228ce904d0ec
__hip_cuid_34de228ce904d0ec:
	.byte	0                               ; 0x0
	.size	__hip_cuid_34de228ce904d0ec, 1

	.ident	"AMD clang version 19.0.0git (https://github.com/RadeonOpenCompute/llvm-project roc-6.4.0 25133 c7fe45cf4b819c5991fe208aaa96edf142730f1d)"
	.section	".note.GNU-stack","",@progbits
	.addrsig
	.addrsig_sym __hip_cuid_34de228ce904d0ec
	.amdgpu_metadata
---
amdhsa.kernels:
  - .agpr_count:     0
    .args:
      - .actual_access:  read_only
        .address_space:  global
        .offset:         0
        .size:           8
        .value_kind:     global_buffer
      - .offset:         8
        .size:           8
        .value_kind:     by_value
      - .actual_access:  read_only
        .address_space:  global
        .offset:         16
        .size:           8
        .value_kind:     global_buffer
      - .actual_access:  read_only
        .address_space:  global
        .offset:         24
        .size:           8
        .value_kind:     global_buffer
      - .offset:         32
        .size:           8
        .value_kind:     by_value
      - .actual_access:  read_only
        .address_space:  global
        .offset:         40
        .size:           8
        .value_kind:     global_buffer
      - .actual_access:  read_only
        .address_space:  global
        .offset:         48
        .size:           8
        .value_kind:     global_buffer
      - .offset:         56
        .size:           4
        .value_kind:     by_value
      - .actual_access:  read_only
        .address_space:  global
        .offset:         64
        .size:           8
        .value_kind:     global_buffer
      - .actual_access:  read_only
        .address_space:  global
        .offset:         72
        .size:           8
        .value_kind:     global_buffer
      - .address_space:  global
        .offset:         80
        .size:           8
        .value_kind:     global_buffer
    .group_segment_fixed_size: 0
    .kernarg_segment_align: 8
    .kernarg_segment_size: 88
    .language:       OpenCL C
    .language_version:
      - 2
      - 0
    .max_flat_workgroup_size: 240
    .name:           fft_rtc_back_len720_factors_10_3_8_3_wgs_240_tpt_120_halfLds_dp_ip_CI_sbrr_dirReg
    .private_segment_fixed_size: 0
    .sgpr_count:     30
    .sgpr_spill_count: 0
    .symbol:         fft_rtc_back_len720_factors_10_3_8_3_wgs_240_tpt_120_halfLds_dp_ip_CI_sbrr_dirReg.kd
    .uniform_work_group_size: 1
    .uses_dynamic_stack: false
    .vgpr_count:     88
    .vgpr_spill_count: 0
    .wavefront_size: 64
amdhsa.target:   amdgcn-amd-amdhsa--gfx950
amdhsa.version:
  - 1
  - 2
...

	.end_amdgpu_metadata
